;; amdgpu-corpus repo=ROCm/rocFFT kind=compiled arch=gfx1030 opt=O3
	.text
	.amdgcn_target "amdgcn-amd-amdhsa--gfx1030"
	.amdhsa_code_object_version 6
	.protected	fft_rtc_back_len1617_factors_3_7_7_11_wgs_231_tpt_231_dp_op_CI_CI_sbrr_dirReg ; -- Begin function fft_rtc_back_len1617_factors_3_7_7_11_wgs_231_tpt_231_dp_op_CI_CI_sbrr_dirReg
	.globl	fft_rtc_back_len1617_factors_3_7_7_11_wgs_231_tpt_231_dp_op_CI_CI_sbrr_dirReg
	.p2align	8
	.type	fft_rtc_back_len1617_factors_3_7_7_11_wgs_231_tpt_231_dp_op_CI_CI_sbrr_dirReg,@function
fft_rtc_back_len1617_factors_3_7_7_11_wgs_231_tpt_231_dp_op_CI_CI_sbrr_dirReg: ; @fft_rtc_back_len1617_factors_3_7_7_11_wgs_231_tpt_231_dp_op_CI_CI_sbrr_dirReg
; %bb.0:
	s_clause 0x2
	s_load_dwordx4 s[16:19], s[4:5], 0x18
	s_load_dwordx4 s[12:15], s[4:5], 0x0
	;; [unrolled: 1-line block ×3, first 2 shown]
	v_mul_u32_u24_e32 v2, 0x11c, v0
	v_mov_b32_e32 v1, 0
	v_mov_b32_e32 v4, 0
	;; [unrolled: 1-line block ×3, first 2 shown]
	s_waitcnt lgkmcnt(0)
	s_load_dwordx2 s[20:21], s[16:17], 0x0
	s_load_dwordx2 s[2:3], s[18:19], 0x0
	v_cmp_lt_u64_e64 s0, s[14:15], 2
	v_add_nc_u32_sdwa v6, s6, v2 dst_sel:DWORD dst_unused:UNUSED_PAD src0_sel:DWORD src1_sel:WORD_1
	v_mov_b32_e32 v7, v1
	s_and_b32 vcc_lo, exec_lo, s0
	s_cbranch_vccnz .LBB0_8
; %bb.1:
	s_load_dwordx2 s[0:1], s[4:5], 0x10
	v_mov_b32_e32 v4, 0
	v_mov_b32_e32 v5, 0
	s_add_u32 s6, s18, 8
	s_addc_u32 s7, s19, 0
	s_add_u32 s22, s16, 8
	s_addc_u32 s23, s17, 0
	v_mov_b32_e32 v85, v5
	v_mov_b32_e32 v84, v4
	s_mov_b64 s[26:27], 1
	s_waitcnt lgkmcnt(0)
	s_add_u32 s24, s0, 8
	s_addc_u32 s25, s1, 0
.LBB0_2:                                ; =>This Inner Loop Header: Depth=1
	s_load_dwordx2 s[28:29], s[24:25], 0x0
                                        ; implicit-def: $vgpr86_vgpr87
	s_mov_b32 s0, exec_lo
	s_waitcnt lgkmcnt(0)
	v_or_b32_e32 v2, s29, v7
	v_cmpx_ne_u64_e32 0, v[1:2]
	s_xor_b32 s1, exec_lo, s0
	s_cbranch_execz .LBB0_4
; %bb.3:                                ;   in Loop: Header=BB0_2 Depth=1
	v_cvt_f32_u32_e32 v2, s28
	v_cvt_f32_u32_e32 v3, s29
	s_sub_u32 s0, 0, s28
	s_subb_u32 s30, 0, s29
	v_fmac_f32_e32 v2, 0x4f800000, v3
	v_rcp_f32_e32 v2, v2
	v_mul_f32_e32 v2, 0x5f7ffffc, v2
	v_mul_f32_e32 v3, 0x2f800000, v2
	v_trunc_f32_e32 v3, v3
	v_fmac_f32_e32 v2, 0xcf800000, v3
	v_cvt_u32_f32_e32 v3, v3
	v_cvt_u32_f32_e32 v2, v2
	v_mul_lo_u32 v8, s0, v3
	v_mul_hi_u32 v9, s0, v2
	v_mul_lo_u32 v10, s30, v2
	v_add_nc_u32_e32 v8, v9, v8
	v_mul_lo_u32 v9, s0, v2
	v_add_nc_u32_e32 v8, v8, v10
	v_mul_hi_u32 v10, v2, v9
	v_mul_lo_u32 v11, v2, v8
	v_mul_hi_u32 v12, v2, v8
	v_mul_hi_u32 v13, v3, v9
	v_mul_lo_u32 v9, v3, v9
	v_mul_hi_u32 v14, v3, v8
	v_mul_lo_u32 v8, v3, v8
	v_add_co_u32 v10, vcc_lo, v10, v11
	v_add_co_ci_u32_e32 v11, vcc_lo, 0, v12, vcc_lo
	v_add_co_u32 v9, vcc_lo, v10, v9
	v_add_co_ci_u32_e32 v9, vcc_lo, v11, v13, vcc_lo
	v_add_co_ci_u32_e32 v10, vcc_lo, 0, v14, vcc_lo
	v_add_co_u32 v8, vcc_lo, v9, v8
	v_add_co_ci_u32_e32 v9, vcc_lo, 0, v10, vcc_lo
	v_add_co_u32 v2, vcc_lo, v2, v8
	v_add_co_ci_u32_e32 v3, vcc_lo, v3, v9, vcc_lo
	v_mul_hi_u32 v8, s0, v2
	v_mul_lo_u32 v10, s30, v2
	v_mul_lo_u32 v9, s0, v3
	v_add_nc_u32_e32 v8, v8, v9
	v_mul_lo_u32 v9, s0, v2
	v_add_nc_u32_e32 v8, v8, v10
	v_mul_hi_u32 v10, v2, v9
	v_mul_lo_u32 v11, v2, v8
	v_mul_hi_u32 v12, v2, v8
	v_mul_hi_u32 v13, v3, v9
	v_mul_lo_u32 v9, v3, v9
	v_mul_hi_u32 v14, v3, v8
	v_mul_lo_u32 v8, v3, v8
	v_add_co_u32 v10, vcc_lo, v10, v11
	v_add_co_ci_u32_e32 v11, vcc_lo, 0, v12, vcc_lo
	v_add_co_u32 v9, vcc_lo, v10, v9
	v_add_co_ci_u32_e32 v9, vcc_lo, v11, v13, vcc_lo
	v_add_co_ci_u32_e32 v10, vcc_lo, 0, v14, vcc_lo
	v_add_co_u32 v8, vcc_lo, v9, v8
	v_add_co_ci_u32_e32 v9, vcc_lo, 0, v10, vcc_lo
	v_add_co_u32 v8, vcc_lo, v2, v8
	v_add_co_ci_u32_e32 v10, vcc_lo, v3, v9, vcc_lo
	v_mul_hi_u32 v12, v6, v8
	v_mad_u64_u32 v[8:9], null, v7, v8, 0
	v_mad_u64_u32 v[2:3], null, v6, v10, 0
	v_mad_u64_u32 v[10:11], null, v7, v10, 0
	v_add_co_u32 v2, vcc_lo, v12, v2
	v_add_co_ci_u32_e32 v3, vcc_lo, 0, v3, vcc_lo
	v_add_co_u32 v2, vcc_lo, v2, v8
	v_add_co_ci_u32_e32 v2, vcc_lo, v3, v9, vcc_lo
	v_add_co_ci_u32_e32 v3, vcc_lo, 0, v11, vcc_lo
	v_add_co_u32 v8, vcc_lo, v2, v10
	v_add_co_ci_u32_e32 v9, vcc_lo, 0, v3, vcc_lo
	v_mul_lo_u32 v10, s29, v8
	v_mad_u64_u32 v[2:3], null, s28, v8, 0
	v_mul_lo_u32 v11, s28, v9
	v_sub_co_u32 v2, vcc_lo, v6, v2
	v_add3_u32 v3, v3, v11, v10
	v_sub_nc_u32_e32 v10, v7, v3
	v_subrev_co_ci_u32_e64 v10, s0, s29, v10, vcc_lo
	v_add_co_u32 v11, s0, v8, 2
	v_add_co_ci_u32_e64 v12, s0, 0, v9, s0
	v_sub_co_u32 v13, s0, v2, s28
	v_sub_co_ci_u32_e32 v3, vcc_lo, v7, v3, vcc_lo
	v_subrev_co_ci_u32_e64 v10, s0, 0, v10, s0
	v_cmp_le_u32_e32 vcc_lo, s28, v13
	v_cmp_eq_u32_e64 s0, s29, v3
	v_cndmask_b32_e64 v13, 0, -1, vcc_lo
	v_cmp_le_u32_e32 vcc_lo, s29, v10
	v_cndmask_b32_e64 v14, 0, -1, vcc_lo
	v_cmp_le_u32_e32 vcc_lo, s28, v2
	;; [unrolled: 2-line block ×3, first 2 shown]
	v_cndmask_b32_e64 v15, 0, -1, vcc_lo
	v_cmp_eq_u32_e32 vcc_lo, s29, v10
	v_cndmask_b32_e64 v2, v15, v2, s0
	v_cndmask_b32_e32 v10, v14, v13, vcc_lo
	v_add_co_u32 v13, vcc_lo, v8, 1
	v_add_co_ci_u32_e32 v14, vcc_lo, 0, v9, vcc_lo
	v_cmp_ne_u32_e32 vcc_lo, 0, v10
	v_cndmask_b32_e32 v3, v14, v12, vcc_lo
	v_cndmask_b32_e32 v10, v13, v11, vcc_lo
	v_cmp_ne_u32_e32 vcc_lo, 0, v2
	v_cndmask_b32_e32 v87, v9, v3, vcc_lo
	v_cndmask_b32_e32 v86, v8, v10, vcc_lo
.LBB0_4:                                ;   in Loop: Header=BB0_2 Depth=1
	s_andn2_saveexec_b32 s0, s1
	s_cbranch_execz .LBB0_6
; %bb.5:                                ;   in Loop: Header=BB0_2 Depth=1
	v_cvt_f32_u32_e32 v2, s28
	s_sub_i32 s1, 0, s28
	v_mov_b32_e32 v87, v1
	v_rcp_iflag_f32_e32 v2, v2
	v_mul_f32_e32 v2, 0x4f7ffffe, v2
	v_cvt_u32_f32_e32 v2, v2
	v_mul_lo_u32 v3, s1, v2
	v_mul_hi_u32 v3, v2, v3
	v_add_nc_u32_e32 v2, v2, v3
	v_mul_hi_u32 v2, v6, v2
	v_mul_lo_u32 v3, v2, s28
	v_add_nc_u32_e32 v8, 1, v2
	v_sub_nc_u32_e32 v3, v6, v3
	v_subrev_nc_u32_e32 v9, s28, v3
	v_cmp_le_u32_e32 vcc_lo, s28, v3
	v_cndmask_b32_e32 v3, v3, v9, vcc_lo
	v_cndmask_b32_e32 v2, v2, v8, vcc_lo
	v_cmp_le_u32_e32 vcc_lo, s28, v3
	v_add_nc_u32_e32 v8, 1, v2
	v_cndmask_b32_e32 v86, v2, v8, vcc_lo
.LBB0_6:                                ;   in Loop: Header=BB0_2 Depth=1
	s_or_b32 exec_lo, exec_lo, s0
	v_mul_lo_u32 v8, v87, s28
	v_mul_lo_u32 v9, v86, s29
	s_load_dwordx2 s[0:1], s[22:23], 0x0
	v_mad_u64_u32 v[2:3], null, v86, s28, 0
	s_load_dwordx2 s[28:29], s[6:7], 0x0
	s_add_u32 s26, s26, 1
	s_addc_u32 s27, s27, 0
	s_add_u32 s6, s6, 8
	s_addc_u32 s7, s7, 0
	s_add_u32 s22, s22, 8
	v_add3_u32 v3, v3, v9, v8
	v_sub_co_u32 v2, vcc_lo, v6, v2
	s_addc_u32 s23, s23, 0
	s_add_u32 s24, s24, 8
	v_sub_co_ci_u32_e32 v3, vcc_lo, v7, v3, vcc_lo
	s_addc_u32 s25, s25, 0
	s_waitcnt lgkmcnt(0)
	v_mul_lo_u32 v6, s0, v3
	v_mul_lo_u32 v7, s1, v2
	v_mad_u64_u32 v[4:5], null, s0, v2, v[4:5]
	v_mul_lo_u32 v3, s28, v3
	v_mul_lo_u32 v8, s29, v2
	v_mad_u64_u32 v[84:85], null, s28, v2, v[84:85]
	v_cmp_ge_u64_e64 s0, s[26:27], s[14:15]
	v_add3_u32 v5, v7, v5, v6
	v_add3_u32 v85, v8, v85, v3
	s_and_b32 vcc_lo, exec_lo, s0
	s_cbranch_vccnz .LBB0_9
; %bb.7:                                ;   in Loop: Header=BB0_2 Depth=1
	v_mov_b32_e32 v6, v86
	v_mov_b32_e32 v7, v87
	s_branch .LBB0_2
.LBB0_8:
	v_mov_b32_e32 v85, v5
	v_mov_b32_e32 v87, v7
	;; [unrolled: 1-line block ×4, first 2 shown]
.LBB0_9:
	s_load_dwordx2 s[0:1], s[4:5], 0x28
	v_mul_hi_u32 v1, 0x11bb4a5, v0
	s_lshl_b64 s[6:7], s[14:15], 3
                                        ; implicit-def: $vgpr88
                                        ; implicit-def: $vgpr37
	s_add_u32 s4, s18, s6
	s_addc_u32 s5, s19, s7
	s_waitcnt lgkmcnt(0)
	v_cmp_gt_u64_e32 vcc_lo, s[0:1], v[86:87]
	v_cmp_le_u64_e64 s0, s[0:1], v[86:87]
	s_and_saveexec_b32 s1, s0
	s_xor_b32 s0, exec_lo, s1
; %bb.10:
	v_mul_u32_u24_e32 v1, 0xe7, v1
                                        ; implicit-def: $vgpr4_vgpr5
	v_sub_nc_u32_e32 v88, v0, v1
                                        ; implicit-def: $vgpr1
                                        ; implicit-def: $vgpr0
	v_add_nc_u32_e32 v37, 0xe7, v88
; %bb.11:
	s_or_saveexec_b32 s1, s0
	s_load_dwordx2 s[4:5], s[4:5], 0x0
                                        ; implicit-def: $vgpr34_vgpr35
                                        ; implicit-def: $vgpr22_vgpr23
                                        ; implicit-def: $vgpr18_vgpr19
                                        ; implicit-def: $vgpr6_vgpr7
                                        ; implicit-def: $vgpr14_vgpr15
                                        ; implicit-def: $vgpr10_vgpr11
                                        ; implicit-def: $vgpr2_vgpr3
                                        ; implicit-def: $vgpr30_vgpr31
                                        ; implicit-def: $vgpr26_vgpr27
	s_xor_b32 exec_lo, exec_lo, s1
	s_cbranch_execz .LBB0_15
; %bb.12:
	s_add_u32 s6, s16, s6
	s_addc_u32 s7, s17, s7
	v_mul_u32_u24_e32 v1, 0xe7, v1
	s_load_dwordx2 s[6:7], s[6:7], 0x0
                                        ; implicit-def: $vgpr32_vgpr33
	v_sub_nc_u32_e32 v88, v0, v1
	v_lshlrev_b64 v[0:1], 4, v[4:5]
	v_add_nc_u32_e32 v15, 0x21b, v88
	v_mad_u64_u32 v[2:3], null, s20, v88, 0
	v_add_nc_u32_e32 v17, 0x436, v88
	v_add_nc_u32_e32 v37, 0xe7, v88
	v_mad_u64_u32 v[4:5], null, s20, v15, 0
	v_add_nc_u32_e32 v20, 0x302, v88
	v_mad_u64_u32 v[6:7], null, s20, v17, 0
	v_mad_u64_u32 v[10:11], null, s20, v37, 0
	s_waitcnt lgkmcnt(0)
	v_mul_lo_u32 v16, s7, v86
	v_mul_lo_u32 v18, s6, v87
	v_mad_u64_u32 v[8:9], null, s6, v86, 0
	v_mad_u64_u32 v[12:13], null, s21, v88, v[3:4]
	v_add_nc_u32_e32 v21, 0x51d, v88
	v_mad_u64_u32 v[13:14], null, s20, v20, 0
	s_mov_b32 s6, exec_lo
	v_add3_u32 v9, v9, v18, v16
	v_mad_u64_u32 v[15:16], null, s21, v15, v[5:6]
	v_mov_b32_e32 v3, v12
	v_lshlrev_b64 v[8:9], 4, v[8:9]
	v_lshlrev_b64 v[2:3], 4, v[2:3]
	v_mov_b32_e32 v5, v15
	v_mad_u64_u32 v[16:17], null, s21, v17, v[7:8]
	v_add_co_u32 v7, s0, s8, v8
	v_add_co_ci_u32_e64 v8, s0, s9, v9, s0
	v_lshlrev_b64 v[4:5], 4, v[4:5]
	v_add_co_u32 v18, s0, v7, v0
	v_add_co_ci_u32_e64 v19, s0, v8, v1, s0
	v_mad_u64_u32 v[0:1], null, s21, v37, v[11:12]
	v_mad_u64_u32 v[8:9], null, s20, v21, 0
	v_add_co_u32 v1, s0, v18, v2
	v_add_co_ci_u32_e64 v2, s0, v19, v3, s0
	v_mov_b32_e32 v3, v14
	v_mov_b32_e32 v11, v0
	;; [unrolled: 1-line block ×4, first 2 shown]
	v_mad_u64_u32 v[14:15], null, s21, v20, v[3:4]
	v_mad_u64_u32 v[15:16], null, s21, v21, v[0:1]
	v_add_co_u32 v3, s0, v18, v4
	v_add_co_ci_u32_e64 v4, s0, v19, v5, s0
	v_lshlrev_b64 v[5:6], 4, v[6:7]
	v_lshlrev_b64 v[10:11], 4, v[10:11]
	v_mov_b32_e32 v9, v15
	v_lshlrev_b64 v[12:13], 4, v[13:14]
                                        ; implicit-def: $vgpr20_vgpr21
	v_add_co_u32 v5, s0, v18, v5
	v_add_co_ci_u32_e64 v6, s0, v19, v6, s0
	v_add_co_u32 v10, s0, v18, v10
	v_lshlrev_b64 v[7:8], 4, v[8:9]
	v_add_co_ci_u32_e64 v11, s0, v19, v11, s0
	v_add_co_u32 v12, s0, v18, v12
	v_add_co_ci_u32_e64 v13, s0, v19, v13, s0
	v_add_co_u32 v16, s0, v18, v7
	v_add_co_ci_u32_e64 v17, s0, v19, v8, s0
	s_clause 0x5
	global_load_dwordx4 v[24:27], v[1:2], off
	global_load_dwordx4 v[28:31], v[3:4], off
	;; [unrolled: 1-line block ×6, first 2 shown]
                                        ; implicit-def: $vgpr16_vgpr17
	v_cmpx_gt_u32_e32 0x4d, v88
	s_cbranch_execz .LBB0_14
; %bb.13:
	v_add_nc_u32_e32 v32, 0x1ce, v88
	v_add_nc_u32_e32 v34, 0x3e9, v88
	;; [unrolled: 1-line block ×3, first 2 shown]
	v_mad_u64_u32 v[16:17], null, s20, v32, 0
	v_mad_u64_u32 v[20:21], null, s20, v34, 0
	;; [unrolled: 1-line block ×5, first 2 shown]
	s_waitcnt vmcnt(5)
	v_mad_u64_u32 v[34:35], null, s21, v35, v[23:24]
	v_mov_b32_e32 v17, v32
	v_mov_b32_e32 v21, v33
	v_lshlrev_b64 v[16:17], 4, v[16:17]
	v_mov_b32_e32 v23, v34
	v_lshlrev_b64 v[20:21], 4, v[20:21]
	v_lshlrev_b64 v[22:23], 4, v[22:23]
	v_add_co_u32 v16, s0, v18, v16
	v_add_co_ci_u32_e64 v17, s0, v19, v17, s0
	v_add_co_u32 v20, s0, v18, v20
	v_add_co_ci_u32_e64 v21, s0, v19, v21, s0
	;; [unrolled: 2-line block ×3, first 2 shown]
	s_clause 0x2
	global_load_dwordx4 v[16:19], v[16:17], off
	global_load_dwordx4 v[20:23], v[20:21], off
	;; [unrolled: 1-line block ×3, first 2 shown]
.LBB0_14:
	s_or_b32 exec_lo, exec_lo, s6
.LBB0_15:
	s_or_b32 exec_lo, exec_lo, s1
	s_waitcnt vmcnt(0)
	v_add_f64 v[46:47], v[32:33], v[20:21]
	v_add_f64 v[48:49], v[34:35], v[22:23]
	;; [unrolled: 1-line block ×7, first 2 shown]
	v_add_f64 v[52:53], v[30:31], -v[2:3]
	v_add_f64 v[30:31], v[30:31], v[26:27]
	v_add_f64 v[54:55], v[12:13], v[8:9]
	;; [unrolled: 1-line block ×3, first 2 shown]
	v_add_f64 v[66:67], v[22:23], -v[34:35]
	v_add_f64 v[70:71], v[20:21], -v[32:33]
	v_add_f64 v[58:59], v[28:29], -v[0:1]
	v_add_f64 v[14:15], v[14:15], -v[6:7]
	v_add_f64 v[62:63], v[12:13], -v[4:5]
	s_mov_b32 s0, 0xe8584caa
	s_mov_b32 s1, 0xbfebb67a
	;; [unrolled: 1-line block ×4, first 2 shown]
	v_mad_u32_u24 v36, v88, 48, 0
	v_fma_f64 v[68:69], v[46:47], -0.5, v[16:17]
	v_fma_f64 v[72:73], v[48:49], -0.5, v[18:19]
	;; [unrolled: 1-line block ×6, first 2 shown]
	v_add_f64 v[9:10], v[0:1], v[50:51]
	v_mad_i32_i24 v8, v37, 48, 0
	v_add_f64 v[11:12], v[2:3], v[30:31]
	v_add_f64 v[24:25], v[4:5], v[54:55]
	;; [unrolled: 1-line block ×3, first 2 shown]
	v_fma_f64 v[0:1], v[66:67], s[0:1], v[68:69]
	v_fma_f64 v[4:5], v[66:67], s[6:7], v[68:69]
	;; [unrolled: 1-line block ×12, first 2 shown]
	s_mov_b32 s1, exec_lo
	ds_write_b128 v36, v[9:12]
	ds_write_b128 v36, v[28:31] offset:16
	ds_write_b128 v36, v[38:41] offset:32
	ds_write_b128 v8, v[24:27]
	ds_write_b128 v8, v[42:45] offset:16
	ds_write_b128 v8, v[46:49] offset:32
	v_cmpx_gt_u32_e32 0x4d, v88
	s_cbranch_execz .LBB0_17
; %bb.16:
	v_add_f64 v[9:10], v[22:23], v[18:19]
	v_add_f64 v[13:14], v[20:21], v[16:17]
	;; [unrolled: 1-line block ×4, first 2 shown]
	ds_write_b128 v36, v[0:3] offset:22192
	ds_write_b128 v36, v[9:12] offset:22176
	;; [unrolled: 1-line block ×3, first 2 shown]
.LBB0_17:
	s_or_b32 exec_lo, exec_lo, s1
	v_and_b32_e32 v35, 0xff, v88
	v_mov_b32_e32 v11, 6
	s_waitcnt lgkmcnt(0)
	s_barrier
	buffer_gl0_inv
	v_mul_lo_u16 v9, 0xab, v35
	s_mov_b32 s6, 0x37e14327
	s_mov_b32 s18, 0xe976ee23
	;; [unrolled: 1-line block ×4, first 2 shown]
	v_lshrrev_b16 v10, 9, v9
	s_mov_b32 s8, 0x429ad128
	s_mov_b32 s0, 0x36b3c0b5
	;; [unrolled: 1-line block ×4, first 2 shown]
	v_mul_lo_u16 v9, v10, 3
	s_mov_b32 s14, 0xaaaaaaaa
	s_mov_b32 s24, 0xb247c609
	;; [unrolled: 1-line block ×4, first 2 shown]
	v_sub_nc_u16 v12, v88, v9
	s_mov_b32 s25, 0xbfd5d0dc
	s_mov_b32 s17, 0x3fe77f67
	;; [unrolled: 1-line block ×4, first 2 shown]
	v_mul_u32_u24_sdwa v9, v12, v11 dst_sel:DWORD dst_unused:UNUSED_PAD src0_sel:BYTE_0 src1_sel:DWORD
	s_mov_b32 s20, s16
	s_mov_b32 s22, s24
	;; [unrolled: 1-line block ×4, first 2 shown]
	v_lshlrev_b32_e32 v9, 4, v9
	s_clause 0x5
	global_load_dwordx4 v[13:16], v9, s[12:13]
	global_load_dwordx4 v[17:20], v9, s[12:13] offset:16
	global_load_dwordx4 v[21:24], v9, s[12:13] offset:80
	global_load_dwordx4 v[25:28], v9, s[12:13] offset:64
	global_load_dwordx4 v[29:32], v9, s[12:13] offset:32
	global_load_dwordx4 v[38:41], v9, s[12:13] offset:48
	v_lshlrev_b32_e32 v9, 5, v37
	v_lshlrev_b32_e32 v37, 5, v88
	v_sub_nc_u32_e32 v9, v8, v9
	v_sub_nc_u32_e32 v8, v36, v37
	ds_read_b128 v[42:45], v9
	ds_read_b128 v[46:49], v8 offset:7392
	ds_read_b128 v[50:53], v8 offset:22176
	;; [unrolled: 1-line block ×5, first 2 shown]
	ds_read_b128 v[66:69], v8
	s_waitcnt vmcnt(0) lgkmcnt(0)
	s_barrier
	buffer_gl0_inv
	v_mul_f64 v[33:34], v[44:45], v[15:16]
	v_mul_f64 v[15:16], v[42:43], v[15:16]
	;; [unrolled: 1-line block ×12, first 2 shown]
	v_fma_f64 v[33:34], v[42:43], v[13:14], v[33:34]
	v_fma_f64 v[13:14], v[44:45], v[13:14], -v[15:16]
	v_fma_f64 v[15:16], v[46:47], v[17:18], v[70:71]
	v_fma_f64 v[17:18], v[48:49], v[17:18], -v[19:20]
	;; [unrolled: 2-line block ×6, first 2 shown]
	v_mov_b32_e32 v75, 4
	v_lshlrev_b32_sdwa v12, v75, v12 dst_sel:DWORD dst_unused:UNUSED_PAD src0_sel:DWORD src1_sel:BYTE_0
	v_add_f64 v[40:41], v[33:34], v[19:20]
	v_add_f64 v[42:43], v[13:14], v[21:22]
	v_add_f64 v[44:45], v[15:16], v[23:24]
	v_add_f64 v[46:47], v[17:18], v[25:26]
	v_add_f64 v[15:16], v[15:16], -v[23:24]
	v_add_f64 v[17:18], v[17:18], -v[25:26]
	v_add_f64 v[23:24], v[27:28], v[31:32]
	v_add_f64 v[25:26], v[29:30], v[38:39]
	v_add_f64 v[27:28], v[31:32], -v[27:28]
	v_add_f64 v[29:30], v[38:39], -v[29:30]
	;; [unrolled: 1-line block ×4, first 2 shown]
	v_add_f64 v[13:14], v[44:45], v[40:41]
	v_add_f64 v[31:32], v[46:47], v[42:43]
	v_add_f64 v[33:34], v[40:41], -v[23:24]
	v_add_f64 v[38:39], v[42:43], -v[25:26]
	;; [unrolled: 1-line block ×6, first 2 shown]
	v_add_f64 v[58:59], v[27:28], v[15:16]
	v_add_f64 v[17:18], v[29:30], v[17:18]
	v_add_f64 v[27:28], v[19:20], -v[27:28]
	v_add_f64 v[29:30], v[21:22], -v[29:30]
	;; [unrolled: 1-line block ×4, first 2 shown]
	v_add_f64 v[56:57], v[23:24], v[13:14]
	v_add_f64 v[31:32], v[25:26], v[31:32]
	v_add_f64 v[23:24], v[23:24], -v[44:45]
	v_add_f64 v[25:26], v[25:26], -v[46:47]
	v_mul_lo_u16 v13, 0x87, v35
	v_mul_f64 v[33:34], v[33:34], s[6:7]
	v_mul_f64 v[38:39], v[38:39], s[6:7]
	;; [unrolled: 1-line block ×4, first 2 shown]
	v_lshrrev_b16 v35, 8, v13
	v_mul_f64 v[60:61], v[52:53], s[8:9]
	v_mul_f64 v[62:63], v[54:55], s[8:9]
	v_add_f64 v[19:20], v[58:59], v[19:20]
	v_add_f64 v[17:18], v[17:18], v[21:22]
	v_sub_nc_u16 v64, v88, v35
	v_add_f64 v[13:14], v[66:67], v[56:57]
	v_add_f64 v[15:16], v[68:69], v[31:32]
	v_mul_f64 v[44:45], v[23:24], s[0:1]
	v_mul_f64 v[46:47], v[25:26], s[0:1]
	v_fma_f64 v[21:22], v[23:24], s[0:1], v[33:34]
	v_fma_f64 v[23:24], v[25:26], s[0:1], v[38:39]
	;; [unrolled: 1-line block ×4, first 2 shown]
	v_fma_f64 v[48:49], v[52:53], s[8:9], -v[48:49]
	v_fma_f64 v[27:28], v[27:28], s[22:23], -v[60:61]
	;; [unrolled: 1-line block ×6, first 2 shown]
	v_fma_f64 v[52:53], v[56:57], s[14:15], v[13:14]
	v_fma_f64 v[31:32], v[31:32], s[14:15], v[15:16]
	v_fma_f64 v[40:41], v[40:41], s[16:17], -v[44:45]
	v_fma_f64 v[42:43], v[42:43], s[16:17], -v[46:47]
	v_lshrrev_b16 v44, 1, v64
	v_fma_f64 v[46:47], v[17:18], s[26:27], v[58:59]
	v_and_b32_e32 v64, 0x7f, v44
	v_fma_f64 v[44:45], v[19:20], s[26:27], v[25:26]
	v_fma_f64 v[54:55], v[19:20], s[26:27], v[27:28]
	;; [unrolled: 1-line block ×5, first 2 shown]
	v_add_nc_u16 v17, v64, v35
	v_mov_b32_e32 v35, 0x150
	v_lshrrev_b16 v17, 4, v17
	v_mul_u32_u24_sdwa v10, v10, v35 dst_sel:DWORD dst_unused:UNUSED_PAD src0_sel:WORD_0 src1_sel:DWORD
	v_add_f64 v[58:59], v[21:22], v[52:53]
	v_add_f64 v[60:61], v[23:24], v[31:32]
	;; [unrolled: 1-line block ×6, first 2 shown]
	v_and_b32_e32 v74, 15, v17
	v_add3_u32 v10, 0, v10, v12
	v_mul_lo_u16 v52, v74, 21
	v_sub_nc_u16 v76, v88, v52
	v_mul_u32_u24_sdwa v11, v76, v11 dst_sel:DWORD dst_unused:UNUSED_PAD src0_sel:BYTE_0 src1_sel:DWORD
	v_add_f64 v[17:18], v[46:47], v[58:59]
	v_add_f64 v[19:20], v[60:61], -v[44:45]
	v_add_f64 v[21:22], v[56:57], v[33:34]
	v_add_f64 v[23:24], v[62:63], -v[54:55]
	v_add_f64 v[25:26], v[29:30], -v[50:51]
	v_add_f64 v[27:28], v[48:49], v[31:32]
	v_add_f64 v[29:30], v[50:51], v[29:30]
	v_add_f64 v[31:32], v[31:32], -v[48:49]
	v_add_f64 v[38:39], v[33:34], -v[56:57]
	v_add_f64 v[40:41], v[54:55], v[62:63]
	v_add_f64 v[42:43], v[58:59], -v[46:47]
	v_add_f64 v[44:45], v[44:45], v[60:61]
	v_lshlrev_b32_e32 v33, 4, v11
	ds_write_b128 v10, v[13:16]
	ds_write_b128 v10, v[17:20] offset:48
	ds_write_b128 v10, v[21:24] offset:96
	;; [unrolled: 1-line block ×6, first 2 shown]
	s_waitcnt lgkmcnt(0)
	s_barrier
	buffer_gl0_inv
	s_clause 0x5
	global_load_dwordx4 v[10:13], v33, s[12:13] offset:288
	global_load_dwordx4 v[14:17], v33, s[12:13] offset:304
	;; [unrolled: 1-line block ×6, first 2 shown]
	ds_read_b128 v[38:41], v9
	ds_read_b128 v[42:45], v8 offset:7392
	ds_read_b128 v[46:49], v8 offset:22176
	;; [unrolled: 1-line block ×5, first 2 shown]
	ds_read_b128 v[62:65], v8
	s_waitcnt vmcnt(0) lgkmcnt(0)
	s_barrier
	buffer_gl0_inv
	v_mul_f64 v[8:9], v[40:41], v[12:13]
	v_mul_f64 v[12:13], v[38:39], v[12:13]
	;; [unrolled: 1-line block ×12, first 2 shown]
	v_fma_f64 v[8:9], v[38:39], v[10:11], v[8:9]
	v_fma_f64 v[10:11], v[40:41], v[10:11], -v[12:13]
	v_fma_f64 v[12:13], v[42:43], v[14:15], v[34:35]
	v_fma_f64 v[14:15], v[44:45], v[14:15], -v[16:17]
	;; [unrolled: 2-line block ×6, first 2 shown]
	v_add_f64 v[32:33], v[8:9], v[16:17]
	v_add_f64 v[34:35], v[10:11], v[18:19]
	;; [unrolled: 1-line block ×4, first 2 shown]
	v_add_f64 v[12:13], v[12:13], -v[20:21]
	v_add_f64 v[14:15], v[14:15], -v[22:23]
	v_add_f64 v[20:21], v[24:25], v[28:29]
	v_add_f64 v[22:23], v[26:27], v[30:31]
	v_add_f64 v[24:25], v[28:29], -v[24:25]
	v_add_f64 v[26:27], v[30:31], -v[26:27]
	;; [unrolled: 1-line block ×4, first 2 shown]
	v_add_f64 v[8:9], v[38:39], v[32:33]
	v_add_f64 v[10:11], v[40:41], v[34:35]
	v_add_f64 v[28:29], v[32:33], -v[20:21]
	v_add_f64 v[30:31], v[34:35], -v[22:23]
	;; [unrolled: 1-line block ×6, first 2 shown]
	v_add_f64 v[12:13], v[24:25], v[12:13]
	v_add_f64 v[14:15], v[26:27], v[14:15]
	v_add_f64 v[24:25], v[16:17], -v[24:25]
	v_add_f64 v[26:27], v[18:19], -v[26:27]
	v_add_f64 v[32:33], v[38:39], -v[32:33]
	v_add_f64 v[34:35], v[40:41], -v[34:35]
	v_add_f64 v[50:51], v[20:21], v[8:9]
	v_add_f64 v[52:53], v[22:23], v[10:11]
	v_add_f64 v[20:21], v[20:21], -v[38:39]
	v_add_f64 v[22:23], v[22:23], -v[40:41]
	v_mul_f64 v[28:29], v[28:29], s[6:7]
	v_mul_f64 v[30:31], v[30:31], s[6:7]
	;; [unrolled: 1-line block ×6, first 2 shown]
	v_add_f64 v[12:13], v[12:13], v[16:17]
	v_add_f64 v[14:15], v[14:15], v[18:19]
	;; [unrolled: 1-line block ×4, first 2 shown]
	v_mul_f64 v[38:39], v[20:21], s[0:1]
	v_mul_f64 v[40:41], v[22:23], s[0:1]
	v_fma_f64 v[16:17], v[20:21], s[0:1], v[28:29]
	v_fma_f64 v[18:19], v[22:23], s[0:1], v[30:31]
	;; [unrolled: 1-line block ×4, first 2 shown]
	v_fma_f64 v[42:43], v[46:47], s[8:9], -v[42:43]
	v_fma_f64 v[44:45], v[48:49], s[8:9], -v[44:45]
	;; [unrolled: 1-line block ×6, first 2 shown]
	v_cmp_gt_u32_e64 s0, 0x93, v88
	v_fma_f64 v[46:47], v[50:51], s[14:15], v[8:9]
	v_fma_f64 v[48:49], v[52:53], s[14:15], v[10:11]
	v_fma_f64 v[32:33], v[32:33], s[16:17], -v[38:39]
	v_fma_f64 v[34:35], v[34:35], s[16:17], -v[40:41]
	v_fma_f64 v[38:39], v[12:13], s[26:27], v[20:21]
	v_fma_f64 v[40:41], v[14:15], s[26:27], v[22:23]
	;; [unrolled: 1-line block ×6, first 2 shown]
	v_add_f64 v[54:55], v[16:17], v[46:47]
	v_add_f64 v[56:57], v[18:19], v[48:49]
	v_add_f64 v[28:29], v[28:29], v[46:47]
	v_add_f64 v[30:31], v[30:31], v[48:49]
	v_add_f64 v[24:25], v[32:33], v[46:47]
	v_add_f64 v[26:27], v[34:35], v[48:49]
	v_add_f64 v[16:17], v[40:41], v[54:55]
	v_add_f64 v[18:19], v[56:57], -v[38:39]
	v_add_f64 v[12:13], v[52:53], v[28:29]
	v_add_f64 v[14:15], v[30:31], -v[50:51]
	v_add_f64 v[20:21], v[24:25], -v[44:45]
	v_add_f64 v[22:23], v[42:43], v[26:27]
	v_add_f64 v[24:25], v[44:45], v[24:25]
	v_add_f64 v[26:27], v[26:27], -v[42:43]
	v_add_f64 v[28:29], v[28:29], -v[52:53]
	v_add_f64 v[30:31], v[50:51], v[30:31]
	v_add_f64 v[32:33], v[54:55], -v[40:41]
	v_add_f64 v[34:35], v[38:39], v[56:57]
	v_mov_b32_e32 v38, 0x930
	v_lshlrev_b32_sdwa v39, v75, v76 dst_sel:DWORD dst_unused:UNUSED_PAD src0_sel:DWORD src1_sel:BYTE_0
                                        ; implicit-def: $vgpr42_vgpr43
	v_mul_u32_u24_sdwa v38, v74, v38 dst_sel:DWORD dst_unused:UNUSED_PAD src0_sel:WORD_0 src1_sel:DWORD
	v_add3_u32 v38, 0, v38, v39
	ds_write_b128 v38, v[8:11]
	ds_write_b128 v38, v[16:19] offset:336
	ds_write_b128 v38, v[12:15] offset:672
	;; [unrolled: 1-line block ×6, first 2 shown]
	s_waitcnt lgkmcnt(0)
	s_barrier
	buffer_gl0_inv
                                        ; implicit-def: $vgpr38_vgpr39
	s_and_saveexec_b32 s1, s0
	s_cbranch_execz .LBB0_19
; %bb.18:
	v_sub_nc_u32_e32 v0, 0, v37
	v_add_nc_u32_e32 v40, v36, v0
	ds_read_b128 v[8:11], v40
	ds_read_b128 v[16:19], v40 offset:2352
	ds_read_b128 v[12:15], v40 offset:4704
	;; [unrolled: 1-line block ×10, first 2 shown]
.LBB0_19:
	s_or_b32 exec_lo, exec_lo, s1
	v_cmp_gt_u32_e64 s1, 0x93, v88
	s_and_b32 s1, vcc_lo, s1
	s_and_saveexec_b32 s6, s1
	s_cbranch_execz .LBB0_21
; %bb.20:
	v_add_nc_u32_e32 v44, 0xffffff6d, v88
	v_mov_b32_e32 v45, 0
	v_add_nc_u32_e32 v113, 0x93, v88
	v_add_nc_u32_e32 v114, 0x126, v88
	v_add_nc_u32_e32 v115, 0x1b9, v88
	v_cndmask_b32_e64 v44, v44, v88, s0
	v_add_nc_u32_e32 v116, 0x24c, v88
	v_add_nc_u32_e32 v117, 0x2df, v88
	v_mul_lo_u32 v111, s5, v86
	v_mul_lo_u32 v112, s4, v87
	v_mul_i32_i24_e32 v44, 10, v44
	v_mad_u64_u32 v[86:87], null, s4, v86, 0
	v_mad_u64_u32 v[89:90], null, s2, v88, 0
	v_lshlrev_b64 v[44:45], 4, v[44:45]
	v_add_nc_u32_e32 v118, 0x372, v88
	v_mad_u64_u32 v[91:92], null, s2, v113, 0
	v_add_nc_u32_e32 v119, 0x405, v88
	v_mad_u64_u32 v[93:94], null, s2, v114, 0
	v_add_co_u32 v50, vcc_lo, s12, v44
	v_add_co_ci_u32_e32 v51, vcc_lo, s13, v45, vcc_lo
	v_add_nc_u32_e32 v120, 0x498, v88
	v_add_co_u32 v44, vcc_lo, 0x800, v50
	v_add_co_ci_u32_e32 v45, vcc_lo, 0, v51, vcc_lo
	v_add_co_u32 v46, vcc_lo, 0x940, v50
	v_add_co_ci_u32_e32 v47, vcc_lo, 0, v51, vcc_lo
	;; [unrolled: 2-line block ×4, first 2 shown]
	s_clause 0x9
	global_load_dwordx4 v[52:55], v[44:45], off offset:320
	global_load_dwordx4 v[56:59], v[46:47], off offset:16
	;; [unrolled: 1-line block ×10, first 2 shown]
	v_mad_u64_u32 v[95:96], null, s2, v115, 0
	v_add_nc_u32_e32 v121, 0x52b, v88
	v_mad_u64_u32 v[97:98], null, s2, v116, 0
	v_mad_u64_u32 v[99:100], null, s2, v117, 0
	;; [unrolled: 1-line block ×5, first 2 shown]
	v_add_nc_u32_e32 v122, 0x5be, v88
	v_mad_u64_u32 v[107:108], null, s2, v121, 0
	v_add3_u32 v87, v87, v112, v111
	v_mad_u64_u32 v[111:112], null, s3, v88, v[90:91]
	v_mov_b32_e32 v88, v92
	v_mov_b32_e32 v90, v94
	v_mov_b32_e32 v92, v96
	v_mov_b32_e32 v94, v98
	v_mov_b32_e32 v96, v100
	v_mov_b32_e32 v98, v102
	v_mad_u64_u32 v[112:113], null, s3, v113, v[88:89]
	v_mov_b32_e32 v100, v104
	v_mad_u64_u32 v[113:114], null, s3, v114, v[90:91]
	v_mov_b32_e32 v102, v106
	v_mad_u64_u32 v[114:115], null, s3, v115, v[92:93]
	v_mad_u64_u32 v[109:110], null, s2, v122, 0
	v_mov_b32_e32 v104, v108
	v_mad_u64_u32 v[115:116], null, s3, v116, v[94:95]
	v_mad_u64_u32 v[116:117], null, s3, v117, v[96:97]
	;; [unrolled: 1-line block ×6, first 2 shown]
	v_mov_b32_e32 v106, v110
	v_mov_b32_e32 v102, v117
	;; [unrolled: 1-line block ×5, first 2 shown]
	v_mad_u64_u32 v[121:122], null, s3, v122, v[106:107]
	v_mov_b32_e32 v106, v119
	v_mov_b32_e32 v108, v120
	v_lshlrev_b64 v[86:87], 4, v[86:87]
	v_lshlrev_b64 v[84:85], 4, v[84:85]
	v_mov_b32_e32 v90, v111
	v_mov_b32_e32 v92, v112
	;; [unrolled: 1-line block ×4, first 2 shown]
	v_add_co_u32 v86, vcc_lo, s10, v86
	v_add_co_ci_u32_e32 v87, vcc_lo, s11, v87, vcc_lo
	v_mov_b32_e32 v110, v121
	v_add_co_u32 v84, vcc_lo, v86, v84
	v_add_co_ci_u32_e32 v85, vcc_lo, v87, v85, vcc_lo
	v_lshlrev_b64 v[86:87], 4, v[89:90]
	v_lshlrev_b64 v[88:89], 4, v[91:92]
	;; [unrolled: 1-line block ×8, first 2 shown]
	v_add_co_u32 v86, vcc_lo, v84, v86
	v_add_co_ci_u32_e32 v87, vcc_lo, v85, v87, vcc_lo
	v_add_co_u32 v88, vcc_lo, v84, v88
	v_add_co_ci_u32_e32 v89, vcc_lo, v85, v89, vcc_lo
	v_add_co_u32 v90, vcc_lo, v84, v90
	v_add_co_ci_u32_e32 v91, vcc_lo, v85, v91, vcc_lo
	v_add_co_u32 v92, vcc_lo, v84, v92
	v_add_co_ci_u32_e32 v93, vcc_lo, v85, v93, vcc_lo
	v_add_co_u32 v94, vcc_lo, v84, v94
	v_add_co_ci_u32_e32 v95, vcc_lo, v85, v95, vcc_lo
	s_mov_b32 s16, 0xbb3a28a1
	s_mov_b32 s22, 0xfd768dbf
	s_mov_b32 s13, 0x3fed1bb4
	s_mov_b32 s12, 0x8eee2c13
	s_mov_b32 s17, 0xbfe82f19
	s_mov_b32 s18, 0xf8bb580b
	s_mov_b32 s23, 0xbfd207e7
	s_mov_b32 s14, 0x43842ef
	s_mov_b32 s19, 0x3fe14ced
	s_mov_b32 s25, 0xbfe14ced
	s_mov_b32 s24, s18
	s_mov_b32 s15, 0xbfefac9e
	s_mov_b32 s8, 0x7f775887
	s_mov_b32 s20, 0x9bcd5057
	s_mov_b32 s9, 0xbfe4f49e
	s_mov_b32 s4, 0x8764f0ba
	s_mov_b32 s21, 0xbfeeb42a
	s_mov_b32 s27, 0x3fd207e7
	s_mov_b32 s29, 0x3fefac9e
	s_mov_b32 s26, s22
	s_mov_b32 s28, s14
	s_mov_b32 s6, 0x640f44db
	s_mov_b32 s0, 0xd9c712b6
	s_mov_b32 s5, 0x3feaeb8c
	s_mov_b32 s7, 0xbfc2375f
	s_mov_b32 s1, 0x3fda9628
	s_waitcnt vmcnt(7) lgkmcnt(6)
	v_mul_f64 v[113:114], v[26:27], v[66:67]
	v_mul_f64 v[66:67], v[24:25], v[66:67]
	s_waitcnt vmcnt(5)
	v_mul_f64 v[117:118], v[18:19], v[70:71]
	s_waitcnt vmcnt(4) lgkmcnt(0)
	v_mul_f64 v[119:120], v[42:43], v[74:75]
	v_mul_f64 v[70:71], v[16:17], v[70:71]
	v_mul_f64 v[74:75], v[40:41], v[74:75]
	s_waitcnt vmcnt(1)
	v_mul_f64 v[125:126], v[14:15], v[50:51]
	v_mul_f64 v[50:51], v[12:13], v[50:51]
	s_waitcnt vmcnt(0)
	v_mul_f64 v[127:128], v[38:39], v[46:47]
	v_mul_f64 v[46:47], v[36:37], v[46:47]
	;; [unrolled: 1-line block ×12, first 2 shown]
	v_fma_f64 v[24:25], v[24:25], v[64:65], v[113:114]
	v_fma_f64 v[26:27], v[26:27], v[64:65], -v[66:67]
	v_fma_f64 v[16:17], v[16:17], v[68:69], v[117:118]
	v_fma_f64 v[40:41], v[40:41], v[72:73], v[119:120]
	v_fma_f64 v[18:19], v[18:19], v[68:69], -v[70:71]
	v_fma_f64 v[42:43], v[42:43], v[72:73], -v[74:75]
	v_fma_f64 v[12:13], v[12:13], v[48:49], v[125:126]
	v_fma_f64 v[14:15], v[14:15], v[48:49], -v[50:51]
	v_fma_f64 v[36:37], v[36:37], v[44:45], v[127:128]
	;; [unrolled: 2-line block ×3, first 2 shown]
	v_fma_f64 v[30:31], v[30:31], v[52:53], -v[54:55]
	v_add_co_u32 v52, vcc_lo, v84, v96
	v_add_co_ci_u32_e32 v53, vcc_lo, v85, v97, vcc_lo
	v_add_co_u32 v54, vcc_lo, v84, v98
	v_fma_f64 v[32:33], v[32:33], v[56:57], v[111:112]
	v_fma_f64 v[0:1], v[0:1], v[60:61], v[115:116]
	v_fma_f64 v[2:3], v[2:3], v[60:61], -v[62:63]
	v_fma_f64 v[34:35], v[34:35], v[56:57], -v[58:59]
	v_fma_f64 v[20:21], v[20:21], v[80:81], v[121:122]
	v_fma_f64 v[22:23], v[22:23], v[80:81], -v[82:83]
	v_fma_f64 v[4:5], v[4:5], v[76:77], v[123:124]
	v_add_f64 v[48:49], v[16:17], -v[40:41]
	v_add_f64 v[68:69], v[16:17], v[40:41]
	v_add_f64 v[64:65], v[18:19], -v[42:43]
	v_add_f64 v[66:67], v[18:19], v[42:43]
	v_add_f64 v[18:19], v[10:11], v[18:19]
	;; [unrolled: 1-line block ×3, first 2 shown]
	v_fma_f64 v[6:7], v[6:7], v[76:77], -v[78:79]
	v_add_co_ci_u32_e32 v55, vcc_lo, v85, v99, vcc_lo
	v_add_f64 v[80:81], v[12:13], -v[36:37]
	v_add_f64 v[82:83], v[14:15], v[38:39]
	v_add_f64 v[96:97], v[14:15], -v[38:39]
	v_add_f64 v[98:99], v[12:13], v[36:37]
	v_add_co_u32 v44, vcc_lo, v84, v100
	v_add_f64 v[56:57], v[28:29], -v[32:33]
	v_add_f64 v[46:47], v[24:25], -v[0:1]
	;; [unrolled: 1-line block ×4, first 2 shown]
	v_add_co_ci_u32_e32 v45, vcc_lo, v85, v101, vcc_lo
	v_add_f64 v[60:61], v[20:21], -v[4:5]
	v_mul_f64 v[111:112], v[48:49], s[22:23]
	v_mul_f64 v[115:116], v[48:49], s[16:17]
	;; [unrolled: 1-line block ×4, first 2 shown]
	v_add_f64 v[14:15], v[14:15], v[18:19]
	v_add_f64 v[12:13], v[12:13], v[16:17]
	v_add_f64 v[62:63], v[22:23], -v[6:7]
	v_mul_f64 v[131:132], v[64:65], s[16:17]
	v_mul_f64 v[135:136], v[64:65], s[24:25]
	v_add_f64 v[100:101], v[28:29], v[32:33]
	v_mul_f64 v[119:120], v[48:49], s[14:15]
	v_mul_f64 v[133:134], v[64:65], s[14:15]
	v_add_f64 v[70:71], v[22:23], v[6:7]
	v_add_f64 v[72:73], v[20:21], v[4:5]
	;; [unrolled: 1-line block ×3, first 2 shown]
	v_mul_f64 v[117:118], v[56:57], s[12:13]
	v_mul_f64 v[102:103], v[46:47], s[12:13]
	;; [unrolled: 1-line block ×9, first 2 shown]
	v_add_f64 v[76:77], v[24:25], v[0:1]
	v_add_f64 v[78:79], v[30:31], v[34:35]
	;; [unrolled: 1-line block ×4, first 2 shown]
	v_mul_f64 v[129:130], v[62:63], s[12:13]
	s_mov_b32 s13, 0xbfed1bb4
	v_mul_f64 v[18:19], v[60:61], s[16:17]
	v_mul_f64 v[48:49], v[48:49], s[12:13]
	;; [unrolled: 1-line block ×18, first 2 shown]
	v_add_f64 v[14:15], v[26:27], v[14:15]
	v_add_f64 v[12:13], v[24:25], v[12:13]
	v_mul_f64 v[157:158], v[56:57], s[14:15]
	v_mul_f64 v[159:160], v[56:57], s[16:17]
	;; [unrolled: 1-line block ×14, first 2 shown]
	v_fma_f64 v[185:186], v[66:67], s[20:21], v[111:112]
	v_fma_f64 v[111:112], v[66:67], s[20:21], -v[111:112]
	v_fma_f64 v[187:188], v[66:67], s[8:9], v[115:116]
	v_fma_f64 v[193:194], v[68:69], s[20:21], -v[127:128]
	;; [unrolled: 2-line block ×3, first 2 shown]
	v_add_f64 v[14:15], v[30:31], v[14:15]
	v_add_f64 v[12:13], v[28:29], v[12:13]
	v_fma_f64 v[195:196], v[68:69], s[8:9], -v[131:132]
	v_fma_f64 v[199:200], v[68:69], s[4:5], -v[135:136]
	v_fma_f64 v[135:136], v[68:69], s[4:5], v[135:136]
	v_fma_f64 v[115:116], v[66:67], s[8:9], -v[115:116]
	v_fma_f64 v[189:190], v[66:67], s[6:7], v[119:120]
	;; [unrolled: 2-line block ×3, first 2 shown]
	v_fma_f64 v[131:132], v[68:69], s[8:9], v[131:132]
	v_fma_f64 v[243:244], v[100:101], s[6:7], -v[179:180]
	v_fma_f64 v[179:180], v[100:101], s[6:7], v[179:180]
	v_fma_f64 v[245:246], v[100:101], s[0:1], -v[121:122]
	;; [unrolled: 2-line block ×3, first 2 shown]
	v_fma_f64 v[181:182], v[100:101], s[8:9], v[181:182]
	v_fma_f64 v[249:250], v[100:101], s[4:5], v[183:184]
	v_fma_f64 v[183:184], v[100:101], s[4:5], -v[183:184]
	v_fma_f64 v[251:252], v[100:101], s[20:21], v[58:59]
	v_fma_f64 v[58:59], v[100:101], s[20:21], -v[58:59]
	;; [unrolled: 2-line block ×3, first 2 shown]
	v_fma_f64 v[66:67], v[68:69], s[0:1], -v[64:65]
	v_fma_f64 v[64:65], v[68:69], s[0:1], v[64:65]
	v_fma_f64 v[197:198], v[68:69], s[6:7], -v[133:134]
	v_fma_f64 v[133:134], v[68:69], s[6:7], v[133:134]
	v_fma_f64 v[22:23], v[70:71], s[8:9], v[18:19]
	v_fma_f64 v[18:19], v[70:71], s[8:9], -v[18:19]
	v_fma_f64 v[201:202], v[70:71], s[4:5], v[137:138]
	v_fma_f64 v[137:138], v[70:71], s[4:5], -v[137:138]
	;; [unrolled: 2-line block ×3, first 2 shown]
	v_fma_f64 v[205:206], v[70:71], s[20:21], -v[139:140]
	v_fma_f64 v[139:140], v[70:71], s[20:21], v[139:140]
	v_fma_f64 v[207:208], v[70:71], s[6:7], -v[60:61]
	v_fma_f64 v[60:61], v[70:71], s[6:7], v[60:61]
	;; [unrolled: 2-line block ×5, first 2 shown]
	v_fma_f64 v[211:212], v[72:73], s[20:21], v[143:144]
	v_fma_f64 v[143:144], v[72:73], s[20:21], -v[143:144]
	v_fma_f64 v[213:214], v[72:73], s[6:7], v[62:63]
	v_fma_f64 v[62:63], v[72:73], s[6:7], -v[62:63]
	;; [unrolled: 2-line block ×5, first 2 shown]
	v_fma_f64 v[219:220], v[74:75], s[6:7], -v[46:47]
	v_fma_f64 v[46:47], v[74:75], s[6:7], v[46:47]
	v_fma_f64 v[221:222], v[74:75], s[8:9], -v[149:150]
	v_fma_f64 v[74:75], v[74:75], s[8:9], v[149:150]
	v_fma_f64 v[149:150], v[76:77], s[0:1], -v[113:114]
	v_fma_f64 v[113:114], v[76:77], s[0:1], v[113:114]
	v_fma_f64 v[223:224], v[76:77], s[20:21], -v[151:152]
	v_fma_f64 v[151:152], v[76:77], s[20:21], v[151:152]
	v_fma_f64 v[225:226], v[76:77], s[4:5], -v[153:154]
	v_fma_f64 v[153:154], v[76:77], s[4:5], v[153:154]
	v_fma_f64 v[227:228], v[76:77], s[6:7], v[50:51]
	v_fma_f64 v[50:51], v[76:77], s[6:7], -v[50:51]
	v_fma_f64 v[229:230], v[76:77], s[8:9], v[155:156]
	v_fma_f64 v[76:77], v[76:77], s[8:9], -v[155:156]
	;; [unrolled: 2-line block ×5, first 2 shown]
	v_fma_f64 v[235:236], v[78:79], s[4:5], -v[56:57]
	v_fma_f64 v[56:57], v[78:79], s[4:5], v[56:57]
	v_fma_f64 v[237:238], v[78:79], s[20:21], -v[161:162]
	v_fma_f64 v[78:79], v[78:79], s[20:21], v[161:162]
	v_fma_f64 v[161:162], v[82:83], s[4:5], v[163:164]
	v_fma_f64 v[163:164], v[82:83], s[4:5], -v[163:164]
	v_fma_f64 v[239:240], v[82:83], s[6:7], v[165:166]
	v_fma_f64 v[165:166], v[82:83], s[6:7], -v[165:166]
	;; [unrolled: 2-line block ×3, first 2 shown]
	v_fma_f64 v[26:27], v[82:83], s[8:9], -v[169:170]
	v_fma_f64 v[169:170], v[82:83], s[8:9], v[169:170]
	v_fma_f64 v[24:25], v[98:99], s[4:5], -v[171:172]
	v_fma_f64 v[171:172], v[98:99], s[4:5], v[171:172]
	;; [unrolled: 2-line block ×5, first 2 shown]
	v_fma_f64 v[82:83], v[98:99], s[8:9], v[177:178]
	v_fma_f64 v[177:178], v[98:99], s[8:9], -v[177:178]
	v_fma_f64 v[253:254], v[98:99], s[0:1], v[96:97]
	v_fma_f64 v[96:97], v[98:99], s[0:1], -v[96:97]
	v_lshlrev_b64 v[98:99], 4, v[105:106]
	v_lshlrev_b64 v[104:105], 4, v[107:108]
	;; [unrolled: 1-line block ×3, first 2 shown]
	v_add_f64 v[108:109], v[10:11], v[185:186]
	v_add_f64 v[185:186], v[8:9], v[193:194]
	;; [unrolled: 1-line block ×110, first 2 shown]
	v_add_co_u32 v46, vcc_lo, v84, v98
	v_add_co_ci_u32_e32 v47, vcc_lo, v85, v99, vcc_lo
	v_add_co_u32 v48, vcc_lo, v84, v104
	v_add_co_ci_u32_e32 v49, vcc_lo, v85, v105, vcc_lo
	;; [unrolled: 2-line block ×3, first 2 shown]
	global_store_dwordx4 v[86:87], v[24:27], off
	global_store_dwordx4 v[88:89], v[20:23], off
	;; [unrolled: 1-line block ×11, first 2 shown]
.LBB0_21:
	s_endpgm
	.section	.rodata,"a",@progbits
	.p2align	6, 0x0
	.amdhsa_kernel fft_rtc_back_len1617_factors_3_7_7_11_wgs_231_tpt_231_dp_op_CI_CI_sbrr_dirReg
		.amdhsa_group_segment_fixed_size 0
		.amdhsa_private_segment_fixed_size 0
		.amdhsa_kernarg_size 104
		.amdhsa_user_sgpr_count 6
		.amdhsa_user_sgpr_private_segment_buffer 1
		.amdhsa_user_sgpr_dispatch_ptr 0
		.amdhsa_user_sgpr_queue_ptr 0
		.amdhsa_user_sgpr_kernarg_segment_ptr 1
		.amdhsa_user_sgpr_dispatch_id 0
		.amdhsa_user_sgpr_flat_scratch_init 0
		.amdhsa_user_sgpr_private_segment_size 0
		.amdhsa_wavefront_size32 1
		.amdhsa_uses_dynamic_stack 0
		.amdhsa_system_sgpr_private_segment_wavefront_offset 0
		.amdhsa_system_sgpr_workgroup_id_x 1
		.amdhsa_system_sgpr_workgroup_id_y 0
		.amdhsa_system_sgpr_workgroup_id_z 0
		.amdhsa_system_sgpr_workgroup_info 0
		.amdhsa_system_vgpr_workitem_id 0
		.amdhsa_next_free_vgpr 255
		.amdhsa_next_free_sgpr 31
		.amdhsa_reserve_vcc 1
		.amdhsa_reserve_flat_scratch 0
		.amdhsa_float_round_mode_32 0
		.amdhsa_float_round_mode_16_64 0
		.amdhsa_float_denorm_mode_32 3
		.amdhsa_float_denorm_mode_16_64 3
		.amdhsa_dx10_clamp 1
		.amdhsa_ieee_mode 1
		.amdhsa_fp16_overflow 0
		.amdhsa_workgroup_processor_mode 1
		.amdhsa_memory_ordered 1
		.amdhsa_forward_progress 0
		.amdhsa_shared_vgpr_count 0
		.amdhsa_exception_fp_ieee_invalid_op 0
		.amdhsa_exception_fp_denorm_src 0
		.amdhsa_exception_fp_ieee_div_zero 0
		.amdhsa_exception_fp_ieee_overflow 0
		.amdhsa_exception_fp_ieee_underflow 0
		.amdhsa_exception_fp_ieee_inexact 0
		.amdhsa_exception_int_div_zero 0
	.end_amdhsa_kernel
	.text
.Lfunc_end0:
	.size	fft_rtc_back_len1617_factors_3_7_7_11_wgs_231_tpt_231_dp_op_CI_CI_sbrr_dirReg, .Lfunc_end0-fft_rtc_back_len1617_factors_3_7_7_11_wgs_231_tpt_231_dp_op_CI_CI_sbrr_dirReg
                                        ; -- End function
	.section	.AMDGPU.csdata,"",@progbits
; Kernel info:
; codeLenInByte = 8768
; NumSgprs: 33
; NumVgprs: 255
; ScratchSize: 0
; MemoryBound: 1
; FloatMode: 240
; IeeeMode: 1
; LDSByteSize: 0 bytes/workgroup (compile time only)
; SGPRBlocks: 4
; VGPRBlocks: 31
; NumSGPRsForWavesPerEU: 33
; NumVGPRsForWavesPerEU: 255
; Occupancy: 4
; WaveLimiterHint : 1
; COMPUTE_PGM_RSRC2:SCRATCH_EN: 0
; COMPUTE_PGM_RSRC2:USER_SGPR: 6
; COMPUTE_PGM_RSRC2:TRAP_HANDLER: 0
; COMPUTE_PGM_RSRC2:TGID_X_EN: 1
; COMPUTE_PGM_RSRC2:TGID_Y_EN: 0
; COMPUTE_PGM_RSRC2:TGID_Z_EN: 0
; COMPUTE_PGM_RSRC2:TIDIG_COMP_CNT: 0
	.text
	.p2alignl 6, 3214868480
	.fill 48, 4, 3214868480
	.type	__hip_cuid_599a0df4e13b92b1,@object ; @__hip_cuid_599a0df4e13b92b1
	.section	.bss,"aw",@nobits
	.globl	__hip_cuid_599a0df4e13b92b1
__hip_cuid_599a0df4e13b92b1:
	.byte	0                               ; 0x0
	.size	__hip_cuid_599a0df4e13b92b1, 1

	.ident	"AMD clang version 19.0.0git (https://github.com/RadeonOpenCompute/llvm-project roc-6.4.0 25133 c7fe45cf4b819c5991fe208aaa96edf142730f1d)"
	.section	".note.GNU-stack","",@progbits
	.addrsig
	.addrsig_sym __hip_cuid_599a0df4e13b92b1
	.amdgpu_metadata
---
amdhsa.kernels:
  - .args:
      - .actual_access:  read_only
        .address_space:  global
        .offset:         0
        .size:           8
        .value_kind:     global_buffer
      - .offset:         8
        .size:           8
        .value_kind:     by_value
      - .actual_access:  read_only
        .address_space:  global
        .offset:         16
        .size:           8
        .value_kind:     global_buffer
      - .actual_access:  read_only
        .address_space:  global
        .offset:         24
        .size:           8
        .value_kind:     global_buffer
      - .actual_access:  read_only
        .address_space:  global
        .offset:         32
        .size:           8
        .value_kind:     global_buffer
      - .offset:         40
        .size:           8
        .value_kind:     by_value
      - .actual_access:  read_only
        .address_space:  global
        .offset:         48
        .size:           8
        .value_kind:     global_buffer
      - .actual_access:  read_only
        .address_space:  global
        .offset:         56
        .size:           8
        .value_kind:     global_buffer
      - .offset:         64
        .size:           4
        .value_kind:     by_value
      - .actual_access:  read_only
        .address_space:  global
        .offset:         72
        .size:           8
        .value_kind:     global_buffer
      - .actual_access:  read_only
        .address_space:  global
        .offset:         80
        .size:           8
        .value_kind:     global_buffer
      - .actual_access:  read_only
        .address_space:  global
        .offset:         88
        .size:           8
        .value_kind:     global_buffer
      - .actual_access:  write_only
        .address_space:  global
        .offset:         96
        .size:           8
        .value_kind:     global_buffer
    .group_segment_fixed_size: 0
    .kernarg_segment_align: 8
    .kernarg_segment_size: 104
    .language:       OpenCL C
    .language_version:
      - 2
      - 0
    .max_flat_workgroup_size: 231
    .name:           fft_rtc_back_len1617_factors_3_7_7_11_wgs_231_tpt_231_dp_op_CI_CI_sbrr_dirReg
    .private_segment_fixed_size: 0
    .sgpr_count:     33
    .sgpr_spill_count: 0
    .symbol:         fft_rtc_back_len1617_factors_3_7_7_11_wgs_231_tpt_231_dp_op_CI_CI_sbrr_dirReg.kd
    .uniform_work_group_size: 1
    .uses_dynamic_stack: false
    .vgpr_count:     255
    .vgpr_spill_count: 0
    .wavefront_size: 32
    .workgroup_processor_mode: 1
amdhsa.target:   amdgcn-amd-amdhsa--gfx1030
amdhsa.version:
  - 1
  - 2
...

	.end_amdgpu_metadata
